;; amdgpu-corpus repo=ROCm/rocFFT kind=compiled arch=gfx906 opt=O3
	.text
	.amdgcn_target "amdgcn-amd-amdhsa--gfx906"
	.amdhsa_code_object_version 6
	.protected	fft_rtc_back_len81_factors_3_3_3_3_wgs_243_tpt_27_sp_op_CI_CI_sbrc_z_xy_diag ; -- Begin function fft_rtc_back_len81_factors_3_3_3_3_wgs_243_tpt_27_sp_op_CI_CI_sbrc_z_xy_diag
	.globl	fft_rtc_back_len81_factors_3_3_3_3_wgs_243_tpt_27_sp_op_CI_CI_sbrc_z_xy_diag
	.p2align	8
	.type	fft_rtc_back_len81_factors_3_3_3_3_wgs_243_tpt_27_sp_op_CI_CI_sbrc_z_xy_diag,@function
fft_rtc_back_len81_factors_3_3_3_3_wgs_243_tpt_27_sp_op_CI_CI_sbrc_z_xy_diag: ; @fft_rtc_back_len81_factors_3_3_3_3_wgs_243_tpt_27_sp_op_CI_CI_sbrc_z_xy_diag
; %bb.0:
	s_load_dwordx8 s[8:15], s[4:5], 0x0
	v_mov_b32_e32 v10, 0
	s_waitcnt lgkmcnt(0)
	s_load_dwordx4 s[0:3], s[12:13], 0x8
	s_load_dwordx2 s[20:21], s[4:5], 0x20
	s_load_dwordx4 s[16:19], s[14:15], 0x0
	s_nop 0
	s_load_dword s12, s[14:15], 0x10
	s_waitcnt lgkmcnt(0)
	s_add_i32 s0, s0, -1
	s_mul_hi_u32 s0, s0, 0x38e38e39
	s_lshr_b32 s0, s0, 1
	s_add_i32 s0, s0, 1
	s_mul_i32 s7, s0, s2
	v_cvt_f32_u32_e32 v1, s7
	s_load_dwordx4 s[0:3], s[20:21], 0x0
	s_load_dword s22, s[20:21], 0x10
	s_waitcnt lgkmcnt(0)
	s_sub_i32 s3, 0, s7
	v_rcp_iflag_f32_e32 v1, v1
	v_mul_f32_e32 v1, 0x4f7ffffe, v1
	v_cvt_u32_f32_e32 v1, v1
	v_readfirstlane_b32 s13, v1
	s_mul_i32 s3, s3, s13
	s_mul_hi_u32 s3, s13, s3
	s_add_i32 s13, s13, s3
	s_mul_hi_u32 s3, s6, s13
	s_mul_i32 s13, s3, s7
	s_sub_i32 s13, s6, s13
	s_add_i32 s19, s3, 1
	s_sub_i32 s23, s13, s7
	s_cmp_ge_u32 s13, s7
	s_cselect_b32 s3, s19, s3
	s_cselect_b32 s13, s23, s13
	s_add_i32 s19, s3, 1
	s_cmp_ge_u32 s13, s7
	s_cselect_b32 s19, s19, s3
	s_mul_i32 s3, s19, s7
	s_sub_i32 s3, s6, s3
	s_mul_hi_u32 s6, s3, 0x2f684bdb
	s_sub_i32 s7, s3, s6
	s_lshr_b32 s7, s7, 1
	s_add_i32 s7, s7, s6
	s_lshr_b32 s6, s7, 4
	s_mul_i32 s7, s6, 27
	s_sub_i32 s3, s3, s7
	s_lshl_b64 s[24:25], s[10:11], 3
	s_add_i32 s10, s6, s3
	s_mul_i32 s6, s3, 9
	s_mul_hi_u32 s3, s10, 0xca4587e7
	s_lshr_b32 s3, s3, 6
	s_mulk_i32 s3, 0x51
	s_sub_i32 s23, s10, s3
	s_mul_i32 s11, s6, s18
	s_mul_i32 s7, s1, s6
	s_mul_hi_u32 s13, s0, s6
	s_mul_i32 s3, s23, s12
	s_add_i32 s7, s13, s7
	s_add_i32 s10, s3, s11
	s_add_u32 s26, s14, s24
	s_addc_u32 s27, s15, s25
	s_load_dwordx2 s[28:29], s[26:27], 0x0
	s_load_dwordx4 s[12:15], s[4:5], 0x58
	v_mul_u32_u24_e32 v1, 0x32a, v0
	v_lshrrev_b32_e32 v15, 16, v1
	v_mul_lo_u16_e32 v1, 0x51, v15
	s_waitcnt lgkmcnt(0)
	s_mul_i32 s3, s29, s19
	s_mul_hi_u32 s4, s28, s19
	s_add_i32 s27, s4, s3
	s_add_u32 s4, s20, s24
	s_addc_u32 s5, s21, s25
	v_sub_u16_e32 v16, v0, v1
	s_load_dwordx2 s[4:5], s[4:5], 0x0
	v_mad_u64_u32 v[1:2], s[30:31], s16, v16, 0
	s_mul_i32 s26, s28, s19
	s_mov_b32 s11, 0
	v_mad_u64_u32 v[2:3], s[16:17], s17, v16, v[2:3]
	s_waitcnt lgkmcnt(0)
	s_mul_i32 s3, s5, s19
	s_mul_hi_u32 s5, s4, s19
	s_add_i32 s3, s5, s3
	s_lshl_b64 s[16:17], s[26:27], 3
	s_add_u32 s5, s12, s16
	v_mul_lo_u32 v9, s18, v15
	s_addc_u32 s16, s13, s17
	s_lshl_b64 s[12:13], s[10:11], 3
	s_add_u32 s5, s5, s12
	v_lshlrev_b64 v[1:2], 3, v[1:2]
	s_addc_u32 s10, s16, s13
	v_mov_b32_e32 v3, s10
	v_add_co_u32_e32 v7, vcc, s5, v1
	v_addc_co_u32_e32 v8, vcc, v3, v2, vcc
	v_lshlrev_b64 v[1:2], 3, v[9:10]
	s_mul_i32 s5, s18, 3
	v_add_u32_e32 v9, s5, v9
	v_add_co_u32_e32 v1, vcc, v7, v1
	v_lshlrev_b64 v[3:4], 3, v[9:10]
	v_addc_co_u32_e32 v2, vcc, v8, v2, vcc
	v_add_u32_e32 v9, s5, v9
	v_add_co_u32_e32 v3, vcc, v7, v3
	v_lshlrev_b64 v[5:6], 3, v[9:10]
	v_addc_co_u32_e32 v4, vcc, v8, v4, vcc
	v_add_co_u32_e32 v5, vcc, v7, v5
	v_addc_co_u32_e32 v6, vcc, v8, v6, vcc
	global_load_dwordx2 v[7:8], v[1:2], off
	global_load_dwordx2 v[11:12], v[3:4], off
	;; [unrolled: 1-line block ×3, first 2 shown]
	v_mov_b32_e32 v1, 27
	v_mul_u32_u24_e32 v2, 0x97c, v0
	v_mul_lo_u16_sdwa v1, v2, v1 dst_sel:DWORD dst_unused:UNUSED_PAD src0_sel:WORD_1 src1_sel:DWORD
	v_mul_u32_u24_e32 v3, 0x288, v15
	v_lshlrev_b32_e32 v4, 3, v16
	v_add_u16_sdwa v2, v2, s6 dst_sel:DWORD dst_unused:UNUSED_PAD src0_sel:WORD_1 src1_sel:DWORD
	v_add3_u32 v3, 0, v3, v4
	v_mul_u32_u24_e32 v4, 0xe38f, v2
	v_lshrrev_b32_e32 v4, 19, v4
	v_mul_lo_u16_e32 v4, 9, v4
	v_sub_u16_e32 v2, v2, v4
	v_sub_u16_e32 v9, v0, v1
	v_mul_lo_u16_e32 v2, 0x51, v2
	v_lshlrev_b32_e32 v1, 3, v9
	v_lshlrev_b32_e32 v15, 3, v2
	v_add3_u32 v16, 0, v15, v1
	v_add3_u32 v17, 0, v1, v15
	s_movk_i32 s5, 0xab
	s_mul_i32 s10, s23, s2
	s_mul_i32 s2, s4, s19
	;; [unrolled: 1-line block ×3, first 2 shown]
	s_waitcnt vmcnt(1)
	ds_write2_b64 v3, v[7:8], v[11:12] offset1:243
	s_waitcnt vmcnt(0)
	ds_write_b64 v3, v[13:14] offset:3888
	s_waitcnt lgkmcnt(0)
	s_barrier
	ds_read_b64 v[5:6], v16
	ds_read2_b64 v[1:4], v17 offset0:27 offset1:54
	v_lshlrev_b32_e32 v12, 4, v9
	v_mov_b32_e32 v11, 4
	s_waitcnt lgkmcnt(0)
	s_barrier
	v_add_f32_e32 v7, v5, v1
	v_add_f32_e32 v13, v1, v3
	;; [unrolled: 1-line block ×3, first 2 shown]
	v_sub_f32_e32 v3, v1, v3
	v_mul_lo_u16_sdwa v1, v9, s5 dst_sel:DWORD dst_unused:UNUSED_PAD src0_sel:BYTE_0 src1_sel:DWORD
	v_lshrrev_b16_e32 v18, 9, v1
	v_sub_f32_e32 v14, v2, v4
	v_add_f32_e32 v8, v6, v2
	v_add_f32_e32 v2, v2, v4
	v_mul_lo_u16_e32 v1, 3, v18
	v_fma_f32 v5, -0.5, v13, v5
	v_sub_u16_e32 v19, v9, v1
	v_fmac_f32_e32 v6, -0.5, v2
	v_mov_b32_e32 v1, v5
	v_add_f32_e32 v8, v8, v4
	v_add_u32_e32 v4, v17, v12
	v_fmac_f32_e32 v5, 0x3f5db3d7, v14
	v_mov_b32_e32 v2, v6
	v_fmac_f32_e32 v6, 0xbf5db3d7, v3
	v_fmac_f32_e32 v1, 0xbf5db3d7, v14
	;; [unrolled: 1-line block ×3, first 2 shown]
	ds_write_b64 v4, v[5:6] offset:16
	ds_write2_b64 v4, v[7:8], v[1:2] offset1:1
	v_lshlrev_b32_sdwa v1, v11, v19 dst_sel:DWORD dst_unused:UNUSED_PAD src0_sel:DWORD src1_sel:BYTE_0
	s_waitcnt lgkmcnt(0)
	s_barrier
	global_load_dwordx4 v[1:4], v1, s[8:9]
	ds_read2_b64 v[5:8], v17 offset0:27 offset1:54
	s_movk_i32 s5, 0x48
	v_mov_b32_e32 v14, 3
	s_waitcnt vmcnt(0) lgkmcnt(0)
	v_mul_f32_e32 v13, v2, v6
	v_mul_f32_e32 v2, v2, v5
	v_fmac_f32_e32 v13, v1, v5
	v_fma_f32 v5, v1, v6, -v2
	v_mul_f32_e32 v6, v4, v8
	v_mul_f32_e32 v1, v4, v7
	v_fmac_f32_e32 v6, v3, v7
	v_fma_f32 v3, v3, v8, -v1
	v_mov_b32_e32 v1, 57
	v_mul_lo_u16_sdwa v1, v9, v1 dst_sel:DWORD dst_unused:UNUSED_PAD src0_sel:BYTE_0 src1_sel:DWORD
	v_lshrrev_b16_e32 v20, 9, v1
	ds_read_b64 v[1:2], v16
	v_mul_lo_u16_e32 v7, 9, v20
	v_mad_u32_u24 v4, v18, s5, 0
	v_sub_u16_e32 v9, v9, v7
	v_lshlrev_b32_sdwa v7, v14, v19 dst_sel:DWORD dst_unused:UNUSED_PAD src0_sel:DWORD src1_sel:BYTE_0
	v_add3_u32 v7, v4, v7, v15
	v_sub_f32_e32 v8, v5, v3
	s_waitcnt lgkmcnt(0)
	v_add_f32_e32 v4, v5, v2
	v_add_f32_e32 v5, v5, v3
	;; [unrolled: 1-line block ×5, first 2 shown]
	v_sub_f32_e32 v13, v13, v6
	v_fma_f32 v1, -0.5, v18, v1
	v_fmac_f32_e32 v2, -0.5, v5
	v_add_f32_e32 v3, v3, v6
	v_lshlrev_b32_sdwa v11, v11, v9 dst_sel:DWORD dst_unused:UNUSED_PAD src0_sel:DWORD src1_sel:BYTE_0
	v_mov_b32_e32 v5, v1
	v_fmac_f32_e32 v1, 0x3f5db3d7, v8
	v_mov_b32_e32 v6, v2
	v_fmac_f32_e32 v2, 0xbf5db3d7, v13
	s_barrier
	v_fmac_f32_e32 v5, 0xbf5db3d7, v8
	v_fmac_f32_e32 v6, 0x3f5db3d7, v13
	ds_write_b64 v7, v[1:2] offset:48
	ds_write2_b64 v7, v[3:4], v[5:6] offset1:3
	s_waitcnt lgkmcnt(0)
	s_barrier
	global_load_dwordx4 v[1:4], v11, s[8:9] offset:48
	ds_read2_b64 v[5:8], v17 offset0:27 offset1:54
	s_movk_i32 s5, 0xd8
	s_waitcnt vmcnt(0) lgkmcnt(0)
	v_mul_f32_e32 v11, v2, v6
	v_mul_f32_e32 v2, v2, v5
	v_fmac_f32_e32 v11, v1, v5
	v_fma_f32 v5, v1, v6, -v2
	v_mul_f32_e32 v1, v4, v7
	v_mul_f32_e32 v6, v4, v8
	v_fma_f32 v4, v3, v8, -v1
	ds_read_b64 v[1:2], v16
	v_fmac_f32_e32 v6, v3, v7
	v_mad_u32_u24 v3, v20, s5, 0
	v_lshlrev_b32_sdwa v7, v14, v9 dst_sel:DWORD dst_unused:UNUSED_PAD src0_sel:DWORD src1_sel:BYTE_0
	v_add_f32_e32 v8, v11, v6
	v_sub_f32_e32 v9, v5, v4
	s_waitcnt lgkmcnt(0)
	v_add_f32_e32 v13, v5, v2
	v_add_f32_e32 v5, v5, v4
	v_add3_u32 v7, v3, v7, v15
	v_add_f32_e32 v3, v11, v1
	v_sub_f32_e32 v11, v11, v6
	v_fma_f32 v1, -0.5, v8, v1
	v_fmac_f32_e32 v2, -0.5, v5
	v_add_f32_e32 v3, v3, v6
	v_add_f32_e32 v4, v13, v4
	v_mov_b32_e32 v5, v1
	v_fmac_f32_e32 v1, 0x3f5db3d7, v9
	v_mov_b32_e32 v6, v2
	v_fmac_f32_e32 v2, 0xbf5db3d7, v11
	s_barrier
	v_fmac_f32_e32 v5, 0xbf5db3d7, v9
	v_fmac_f32_e32 v6, 0x3f5db3d7, v11
	ds_write_b64 v7, v[1:2] offset:144
	ds_write2_b64 v7, v[3:4], v[5:6] offset1:9
	s_waitcnt lgkmcnt(0)
	s_barrier
	global_load_dwordx4 v[1:4], v12, s[8:9] offset:192
	v_mul_u32_u24_e32 v5, 0x1c72, v0
	v_lshrrev_b32_e32 v9, 16, v5
	v_mul_lo_u16_e32 v5, 9, v9
	v_sub_u16_e32 v5, v0, v5
	v_mad_u64_u32 v[11:12], s[8:9], s0, v5, 0
	v_mul_lo_u16_e32 v0, 0x51, v5
	v_lshlrev_b32_e32 v6, 3, v9
	v_lshlrev_b32_e32 v0, 3, v0
	v_add3_u32 v14, 0, v0, v6
	v_add3_u32 v15, 0, v6, v0
	v_mov_b32_e32 v0, v12
	v_mul_lo_u32 v9, s22, v9
	s_waitcnt vmcnt(0)
	v_mad_u64_u32 v[12:13], s[8:9], s1, v5, v[0:1]
	ds_read2_b64 v[5:8], v17 offset0:27 offset1:54
	s_mul_i32 s1, s22, 27
	v_lshlrev_b64 v[11:12], 3, v[11:12]
	s_waitcnt lgkmcnt(0)
	v_mul_f32_e32 v13, v2, v6
	v_mul_f32_e32 v0, v2, v5
	;; [unrolled: 1-line block ×4, first 2 shown]
	v_fmac_f32_e32 v13, v1, v5
	v_fma_f32 v19, v1, v6, -v0
	v_lshlrev_b64 v[0:1], 3, v[9:10]
	v_add_u32_e32 v9, s1, v9
	v_fmac_f32_e32 v18, v3, v7
	v_fma_f32 v20, v3, v8, -v2
	v_lshlrev_b64 v[2:3], 3, v[9:10]
	v_add_u32_e32 v9, s1, v9
	s_lshl_b64 s[0:1], s[2:3], 3
	s_add_u32 s2, s14, s0
	s_addc_u32 s3, s15, s1
	s_lshl_b64 s[0:1], s[6:7], 3
	s_add_u32 s2, s2, s0
	s_addc_u32 s3, s3, s1
	;; [unrolled: 3-line block ×3, first 2 shown]
	v_mov_b32_e32 v6, s1
	v_add_co_u32_e32 v21, vcc, s0, v11
	v_addc_co_u32_e32 v12, vcc, v6, v12, vcc
	v_add_co_u32_e32 v6, vcc, v21, v0
	v_addc_co_u32_e32 v7, vcc, v12, v1, vcc
	ds_read_b64 v[0:1], v16
	v_add_co_u32_e32 v8, vcc, v21, v2
	v_lshlrev_b64 v[4:5], 3, v[9:10]
	v_addc_co_u32_e32 v9, vcc, v12, v3, vcc
	v_add_f32_e32 v3, v13, v18
	v_add_f32_e32 v10, v19, v20
	s_waitcnt lgkmcnt(0)
	v_add_f32_e32 v2, v13, v0
	v_fma_f32 v0, -0.5, v3, v0
	v_add_f32_e32 v3, v19, v1
	v_fmac_f32_e32 v1, -0.5, v10
	v_sub_f32_e32 v16, v19, v20
	v_sub_f32_e32 v13, v13, v18
	v_mov_b32_e32 v10, v0
	v_mov_b32_e32 v11, v1
	v_add_f32_e32 v2, v2, v18
	v_add_f32_e32 v3, v3, v20
	v_fmac_f32_e32 v0, 0x3f5db3d7, v16
	v_fmac_f32_e32 v1, 0xbf5db3d7, v13
	;; [unrolled: 1-line block ×4, first 2 shown]
	s_barrier
	ds_write_b64 v17, v[0:1] offset:432
	ds_write2_b64 v17, v[2:3], v[10:11] offset1:27
	s_waitcnt lgkmcnt(0)
	s_barrier
	ds_read_b64 v[10:11], v14
	ds_read2_b64 v[0:3], v15 offset0:27 offset1:54
	v_add_co_u32_e32 v4, vcc, v21, v4
	v_addc_co_u32_e32 v5, vcc, v12, v5, vcc
	s_waitcnt lgkmcnt(1)
	global_store_dwordx2 v[6:7], v[10:11], off
	s_waitcnt lgkmcnt(0)
	global_store_dwordx2 v[8:9], v[0:1], off
	global_store_dwordx2 v[4:5], v[2:3], off
	s_endpgm
	.section	.rodata,"a",@progbits
	.p2align	6, 0x0
	.amdhsa_kernel fft_rtc_back_len81_factors_3_3_3_3_wgs_243_tpt_27_sp_op_CI_CI_sbrc_z_xy_diag
		.amdhsa_group_segment_fixed_size 0
		.amdhsa_private_segment_fixed_size 0
		.amdhsa_kernarg_size 104
		.amdhsa_user_sgpr_count 6
		.amdhsa_user_sgpr_private_segment_buffer 1
		.amdhsa_user_sgpr_dispatch_ptr 0
		.amdhsa_user_sgpr_queue_ptr 0
		.amdhsa_user_sgpr_kernarg_segment_ptr 1
		.amdhsa_user_sgpr_dispatch_id 0
		.amdhsa_user_sgpr_flat_scratch_init 0
		.amdhsa_user_sgpr_private_segment_size 0
		.amdhsa_uses_dynamic_stack 0
		.amdhsa_system_sgpr_private_segment_wavefront_offset 0
		.amdhsa_system_sgpr_workgroup_id_x 1
		.amdhsa_system_sgpr_workgroup_id_y 0
		.amdhsa_system_sgpr_workgroup_id_z 0
		.amdhsa_system_sgpr_workgroup_info 0
		.amdhsa_system_vgpr_workitem_id 0
		.amdhsa_next_free_vgpr 22
		.amdhsa_next_free_sgpr 32
		.amdhsa_reserve_vcc 1
		.amdhsa_reserve_flat_scratch 0
		.amdhsa_float_round_mode_32 0
		.amdhsa_float_round_mode_16_64 0
		.amdhsa_float_denorm_mode_32 3
		.amdhsa_float_denorm_mode_16_64 3
		.amdhsa_dx10_clamp 1
		.amdhsa_ieee_mode 1
		.amdhsa_fp16_overflow 0
		.amdhsa_exception_fp_ieee_invalid_op 0
		.amdhsa_exception_fp_denorm_src 0
		.amdhsa_exception_fp_ieee_div_zero 0
		.amdhsa_exception_fp_ieee_overflow 0
		.amdhsa_exception_fp_ieee_underflow 0
		.amdhsa_exception_fp_ieee_inexact 0
		.amdhsa_exception_int_div_zero 0
	.end_amdhsa_kernel
	.text
.Lfunc_end0:
	.size	fft_rtc_back_len81_factors_3_3_3_3_wgs_243_tpt_27_sp_op_CI_CI_sbrc_z_xy_diag, .Lfunc_end0-fft_rtc_back_len81_factors_3_3_3_3_wgs_243_tpt_27_sp_op_CI_CI_sbrc_z_xy_diag
                                        ; -- End function
	.section	.AMDGPU.csdata,"",@progbits
; Kernel info:
; codeLenInByte = 1756
; NumSgprs: 36
; NumVgprs: 22
; ScratchSize: 0
; MemoryBound: 0
; FloatMode: 240
; IeeeMode: 1
; LDSByteSize: 0 bytes/workgroup (compile time only)
; SGPRBlocks: 4
; VGPRBlocks: 5
; NumSGPRsForWavesPerEU: 36
; NumVGPRsForWavesPerEU: 22
; Occupancy: 10
; WaveLimiterHint : 1
; COMPUTE_PGM_RSRC2:SCRATCH_EN: 0
; COMPUTE_PGM_RSRC2:USER_SGPR: 6
; COMPUTE_PGM_RSRC2:TRAP_HANDLER: 0
; COMPUTE_PGM_RSRC2:TGID_X_EN: 1
; COMPUTE_PGM_RSRC2:TGID_Y_EN: 0
; COMPUTE_PGM_RSRC2:TGID_Z_EN: 0
; COMPUTE_PGM_RSRC2:TIDIG_COMP_CNT: 0
	.type	__hip_cuid_3ff0cb9cfc5f4cff,@object ; @__hip_cuid_3ff0cb9cfc5f4cff
	.section	.bss,"aw",@nobits
	.globl	__hip_cuid_3ff0cb9cfc5f4cff
__hip_cuid_3ff0cb9cfc5f4cff:
	.byte	0                               ; 0x0
	.size	__hip_cuid_3ff0cb9cfc5f4cff, 1

	.ident	"AMD clang version 19.0.0git (https://github.com/RadeonOpenCompute/llvm-project roc-6.4.0 25133 c7fe45cf4b819c5991fe208aaa96edf142730f1d)"
	.section	".note.GNU-stack","",@progbits
	.addrsig
	.addrsig_sym __hip_cuid_3ff0cb9cfc5f4cff
	.amdgpu_metadata
---
amdhsa.kernels:
  - .args:
      - .actual_access:  read_only
        .address_space:  global
        .offset:         0
        .size:           8
        .value_kind:     global_buffer
      - .offset:         8
        .size:           8
        .value_kind:     by_value
      - .actual_access:  read_only
        .address_space:  global
        .offset:         16
        .size:           8
        .value_kind:     global_buffer
      - .actual_access:  read_only
        .address_space:  global
        .offset:         24
        .size:           8
        .value_kind:     global_buffer
      - .actual_access:  read_only
        .address_space:  global
        .offset:         32
        .size:           8
        .value_kind:     global_buffer
      - .offset:         40
        .size:           8
        .value_kind:     by_value
      - .actual_access:  read_only
        .address_space:  global
        .offset:         48
        .size:           8
        .value_kind:     global_buffer
      - .actual_access:  read_only
        .address_space:  global
        .offset:         56
        .size:           8
        .value_kind:     global_buffer
      - .offset:         64
        .size:           4
        .value_kind:     by_value
      - .actual_access:  read_only
        .address_space:  global
        .offset:         72
        .size:           8
        .value_kind:     global_buffer
      - .actual_access:  read_only
        .address_space:  global
        .offset:         80
        .size:           8
        .value_kind:     global_buffer
      - .actual_access:  read_only
        .address_space:  global
        .offset:         88
        .size:           8
        .value_kind:     global_buffer
      - .actual_access:  write_only
        .address_space:  global
        .offset:         96
        .size:           8
        .value_kind:     global_buffer
    .group_segment_fixed_size: 0
    .kernarg_segment_align: 8
    .kernarg_segment_size: 104
    .language:       OpenCL C
    .language_version:
      - 2
      - 0
    .max_flat_workgroup_size: 243
    .name:           fft_rtc_back_len81_factors_3_3_3_3_wgs_243_tpt_27_sp_op_CI_CI_sbrc_z_xy_diag
    .private_segment_fixed_size: 0
    .sgpr_count:     36
    .sgpr_spill_count: 0
    .symbol:         fft_rtc_back_len81_factors_3_3_3_3_wgs_243_tpt_27_sp_op_CI_CI_sbrc_z_xy_diag.kd
    .uniform_work_group_size: 1
    .uses_dynamic_stack: false
    .vgpr_count:     22
    .vgpr_spill_count: 0
    .wavefront_size: 64
amdhsa.target:   amdgcn-amd-amdhsa--gfx906
amdhsa.version:
  - 1
  - 2
...

	.end_amdgpu_metadata
